;; amdgpu-corpus repo=ROCm/rocFFT kind=compiled arch=gfx1201 opt=O3
	.text
	.amdgcn_target "amdgcn-amd-amdhsa--gfx1201"
	.amdhsa_code_object_version 6
	.protected	fft_rtc_back_len700_factors_10_7_10_wgs_100_tpt_100_half_ip_CI_sbrr_dirReg ; -- Begin function fft_rtc_back_len700_factors_10_7_10_wgs_100_tpt_100_half_ip_CI_sbrr_dirReg
	.globl	fft_rtc_back_len700_factors_10_7_10_wgs_100_tpt_100_half_ip_CI_sbrr_dirReg
	.p2align	8
	.type	fft_rtc_back_len700_factors_10_7_10_wgs_100_tpt_100_half_ip_CI_sbrr_dirReg,@function
fft_rtc_back_len700_factors_10_7_10_wgs_100_tpt_100_half_ip_CI_sbrr_dirReg: ; @fft_rtc_back_len700_factors_10_7_10_wgs_100_tpt_100_half_ip_CI_sbrr_dirReg
; %bb.0:
	s_clause 0x2
	s_load_b64 s[12:13], s[0:1], 0x18
	s_load_b128 s[4:7], s[0:1], 0x0
	s_load_b64 s[10:11], s[0:1], 0x50
	v_mul_u32_u24_e32 v1, 0x290, v0
	v_mov_b32_e32 v3, 0
	s_delay_alu instid0(VALU_DEP_2) | instskip(NEXT) | instid1(VALU_DEP_1)
	v_lshrrev_b32_e32 v1, 16, v1
	v_add_nc_u32_e32 v5, ttmp9, v1
	v_mov_b32_e32 v1, 0
	v_mov_b32_e32 v2, 0
	;; [unrolled: 1-line block ×3, first 2 shown]
	s_wait_kmcnt 0x0
	s_load_b64 s[8:9], s[12:13], 0x0
	v_cmp_lt_u64_e64 s2, s[6:7], 2
	s_delay_alu instid0(VALU_DEP_1)
	s_and_b32 vcc_lo, exec_lo, s2
	s_cbranch_vccnz .LBB0_8
; %bb.1:
	s_load_b64 s[2:3], s[0:1], 0x10
	v_mov_b32_e32 v1, 0
	v_mov_b32_e32 v2, 0
	s_add_nc_u64 s[14:15], s[12:13], 8
	s_mov_b64 s[16:17], 1
	s_wait_kmcnt 0x0
	s_add_nc_u64 s[18:19], s[2:3], 8
	s_mov_b32 s3, 0
.LBB0_2:                                ; =>This Inner Loop Header: Depth=1
	s_load_b64 s[20:21], s[18:19], 0x0
                                        ; implicit-def: $vgpr7_vgpr8
	s_mov_b32 s2, exec_lo
	s_wait_kmcnt 0x0
	v_or_b32_e32 v4, s21, v6
	s_delay_alu instid0(VALU_DEP_1)
	v_cmpx_ne_u64_e32 0, v[3:4]
	s_wait_alu 0xfffe
	s_xor_b32 s22, exec_lo, s2
	s_cbranch_execz .LBB0_4
; %bb.3:                                ;   in Loop: Header=BB0_2 Depth=1
	s_cvt_f32_u32 s2, s20
	s_cvt_f32_u32 s23, s21
	s_sub_nc_u64 s[26:27], 0, s[20:21]
	s_wait_alu 0xfffe
	s_delay_alu instid0(SALU_CYCLE_1) | instskip(SKIP_1) | instid1(SALU_CYCLE_2)
	s_fmamk_f32 s2, s23, 0x4f800000, s2
	s_wait_alu 0xfffe
	v_s_rcp_f32 s2, s2
	s_delay_alu instid0(TRANS32_DEP_1) | instskip(SKIP_1) | instid1(SALU_CYCLE_2)
	s_mul_f32 s2, s2, 0x5f7ffffc
	s_wait_alu 0xfffe
	s_mul_f32 s23, s2, 0x2f800000
	s_wait_alu 0xfffe
	s_delay_alu instid0(SALU_CYCLE_2) | instskip(SKIP_1) | instid1(SALU_CYCLE_2)
	s_trunc_f32 s23, s23
	s_wait_alu 0xfffe
	s_fmamk_f32 s2, s23, 0xcf800000, s2
	s_cvt_u32_f32 s25, s23
	s_wait_alu 0xfffe
	s_delay_alu instid0(SALU_CYCLE_1) | instskip(SKIP_1) | instid1(SALU_CYCLE_2)
	s_cvt_u32_f32 s24, s2
	s_wait_alu 0xfffe
	s_mul_u64 s[28:29], s[26:27], s[24:25]
	s_wait_alu 0xfffe
	s_mul_hi_u32 s31, s24, s29
	s_mul_i32 s30, s24, s29
	s_mul_hi_u32 s2, s24, s28
	s_mul_i32 s33, s25, s28
	s_wait_alu 0xfffe
	s_add_nc_u64 s[30:31], s[2:3], s[30:31]
	s_mul_hi_u32 s23, s25, s28
	s_mul_hi_u32 s34, s25, s29
	s_add_co_u32 s2, s30, s33
	s_wait_alu 0xfffe
	s_add_co_ci_u32 s2, s31, s23
	s_mul_i32 s28, s25, s29
	s_add_co_ci_u32 s29, s34, 0
	s_wait_alu 0xfffe
	s_add_nc_u64 s[28:29], s[2:3], s[28:29]
	s_wait_alu 0xfffe
	v_add_co_u32 v4, s2, s24, s28
	s_delay_alu instid0(VALU_DEP_1) | instskip(SKIP_1) | instid1(VALU_DEP_1)
	s_cmp_lg_u32 s2, 0
	s_add_co_ci_u32 s25, s25, s29
	v_readfirstlane_b32 s24, v4
	s_wait_alu 0xfffe
	s_delay_alu instid0(VALU_DEP_1)
	s_mul_u64 s[26:27], s[26:27], s[24:25]
	s_wait_alu 0xfffe
	s_mul_hi_u32 s29, s24, s27
	s_mul_i32 s28, s24, s27
	s_mul_hi_u32 s2, s24, s26
	s_mul_i32 s30, s25, s26
	s_wait_alu 0xfffe
	s_add_nc_u64 s[28:29], s[2:3], s[28:29]
	s_mul_hi_u32 s23, s25, s26
	s_mul_hi_u32 s24, s25, s27
	s_wait_alu 0xfffe
	s_add_co_u32 s2, s28, s30
	s_add_co_ci_u32 s2, s29, s23
	s_mul_i32 s26, s25, s27
	s_add_co_ci_u32 s27, s24, 0
	s_wait_alu 0xfffe
	s_add_nc_u64 s[26:27], s[2:3], s[26:27]
	s_wait_alu 0xfffe
	v_add_co_u32 v4, s2, v4, s26
	s_delay_alu instid0(VALU_DEP_1) | instskip(SKIP_1) | instid1(VALU_DEP_1)
	s_cmp_lg_u32 s2, 0
	s_add_co_ci_u32 s2, s25, s27
	v_mul_hi_u32 v13, v5, v4
	s_wait_alu 0xfffe
	v_mad_co_u64_u32 v[7:8], null, v5, s2, 0
	v_mad_co_u64_u32 v[9:10], null, v6, v4, 0
	;; [unrolled: 1-line block ×3, first 2 shown]
	s_delay_alu instid0(VALU_DEP_3) | instskip(SKIP_1) | instid1(VALU_DEP_4)
	v_add_co_u32 v4, vcc_lo, v13, v7
	s_wait_alu 0xfffd
	v_add_co_ci_u32_e32 v7, vcc_lo, 0, v8, vcc_lo
	s_delay_alu instid0(VALU_DEP_2) | instskip(SKIP_1) | instid1(VALU_DEP_2)
	v_add_co_u32 v4, vcc_lo, v4, v9
	s_wait_alu 0xfffd
	v_add_co_ci_u32_e32 v4, vcc_lo, v7, v10, vcc_lo
	s_wait_alu 0xfffd
	v_add_co_ci_u32_e32 v7, vcc_lo, 0, v12, vcc_lo
	s_delay_alu instid0(VALU_DEP_2) | instskip(SKIP_1) | instid1(VALU_DEP_2)
	v_add_co_u32 v4, vcc_lo, v4, v11
	s_wait_alu 0xfffd
	v_add_co_ci_u32_e32 v9, vcc_lo, 0, v7, vcc_lo
	s_delay_alu instid0(VALU_DEP_2) | instskip(SKIP_1) | instid1(VALU_DEP_3)
	v_mul_lo_u32 v10, s21, v4
	v_mad_co_u64_u32 v[7:8], null, s20, v4, 0
	v_mul_lo_u32 v11, s20, v9
	s_delay_alu instid0(VALU_DEP_2) | instskip(NEXT) | instid1(VALU_DEP_2)
	v_sub_co_u32 v7, vcc_lo, v5, v7
	v_add3_u32 v8, v8, v11, v10
	s_delay_alu instid0(VALU_DEP_1) | instskip(SKIP_1) | instid1(VALU_DEP_1)
	v_sub_nc_u32_e32 v10, v6, v8
	s_wait_alu 0xfffd
	v_subrev_co_ci_u32_e64 v10, s2, s21, v10, vcc_lo
	v_add_co_u32 v11, s2, v4, 2
	s_wait_alu 0xf1ff
	v_add_co_ci_u32_e64 v12, s2, 0, v9, s2
	v_sub_co_u32 v13, s2, v7, s20
	v_sub_co_ci_u32_e32 v8, vcc_lo, v6, v8, vcc_lo
	s_wait_alu 0xf1ff
	v_subrev_co_ci_u32_e64 v10, s2, 0, v10, s2
	s_delay_alu instid0(VALU_DEP_3) | instskip(NEXT) | instid1(VALU_DEP_3)
	v_cmp_le_u32_e32 vcc_lo, s20, v13
	v_cmp_eq_u32_e64 s2, s21, v8
	s_wait_alu 0xfffd
	v_cndmask_b32_e64 v13, 0, -1, vcc_lo
	v_cmp_le_u32_e32 vcc_lo, s21, v10
	s_wait_alu 0xfffd
	v_cndmask_b32_e64 v14, 0, -1, vcc_lo
	v_cmp_le_u32_e32 vcc_lo, s20, v7
	;; [unrolled: 3-line block ×3, first 2 shown]
	s_wait_alu 0xfffd
	v_cndmask_b32_e64 v15, 0, -1, vcc_lo
	v_cmp_eq_u32_e32 vcc_lo, s21, v10
	s_wait_alu 0xf1ff
	s_delay_alu instid0(VALU_DEP_2)
	v_cndmask_b32_e64 v7, v15, v7, s2
	s_wait_alu 0xfffd
	v_cndmask_b32_e32 v10, v14, v13, vcc_lo
	v_add_co_u32 v13, vcc_lo, v4, 1
	s_wait_alu 0xfffd
	v_add_co_ci_u32_e32 v14, vcc_lo, 0, v9, vcc_lo
	s_delay_alu instid0(VALU_DEP_3) | instskip(SKIP_2) | instid1(VALU_DEP_3)
	v_cmp_ne_u32_e32 vcc_lo, 0, v10
	s_wait_alu 0xfffd
	v_cndmask_b32_e32 v10, v13, v11, vcc_lo
	v_cndmask_b32_e32 v8, v14, v12, vcc_lo
	v_cmp_ne_u32_e32 vcc_lo, 0, v7
	s_wait_alu 0xfffd
	s_delay_alu instid0(VALU_DEP_2)
	v_dual_cndmask_b32 v7, v4, v10 :: v_dual_cndmask_b32 v8, v9, v8
.LBB0_4:                                ;   in Loop: Header=BB0_2 Depth=1
	s_wait_alu 0xfffe
	s_and_not1_saveexec_b32 s2, s22
	s_cbranch_execz .LBB0_6
; %bb.5:                                ;   in Loop: Header=BB0_2 Depth=1
	v_cvt_f32_u32_e32 v4, s20
	s_sub_co_i32 s22, 0, s20
	s_delay_alu instid0(VALU_DEP_1) | instskip(NEXT) | instid1(TRANS32_DEP_1)
	v_rcp_iflag_f32_e32 v4, v4
	v_mul_f32_e32 v4, 0x4f7ffffe, v4
	s_delay_alu instid0(VALU_DEP_1) | instskip(SKIP_1) | instid1(VALU_DEP_1)
	v_cvt_u32_f32_e32 v4, v4
	s_wait_alu 0xfffe
	v_mul_lo_u32 v7, s22, v4
	s_delay_alu instid0(VALU_DEP_1) | instskip(NEXT) | instid1(VALU_DEP_1)
	v_mul_hi_u32 v7, v4, v7
	v_add_nc_u32_e32 v4, v4, v7
	s_delay_alu instid0(VALU_DEP_1) | instskip(NEXT) | instid1(VALU_DEP_1)
	v_mul_hi_u32 v4, v5, v4
	v_mul_lo_u32 v7, v4, s20
	v_add_nc_u32_e32 v8, 1, v4
	s_delay_alu instid0(VALU_DEP_2) | instskip(NEXT) | instid1(VALU_DEP_1)
	v_sub_nc_u32_e32 v7, v5, v7
	v_subrev_nc_u32_e32 v9, s20, v7
	v_cmp_le_u32_e32 vcc_lo, s20, v7
	s_wait_alu 0xfffd
	s_delay_alu instid0(VALU_DEP_2) | instskip(NEXT) | instid1(VALU_DEP_1)
	v_dual_cndmask_b32 v7, v7, v9 :: v_dual_cndmask_b32 v4, v4, v8
	v_cmp_le_u32_e32 vcc_lo, s20, v7
	s_delay_alu instid0(VALU_DEP_2) | instskip(SKIP_1) | instid1(VALU_DEP_1)
	v_add_nc_u32_e32 v8, 1, v4
	s_wait_alu 0xfffd
	v_dual_cndmask_b32 v7, v4, v8 :: v_dual_mov_b32 v8, v3
.LBB0_6:                                ;   in Loop: Header=BB0_2 Depth=1
	s_wait_alu 0xfffe
	s_or_b32 exec_lo, exec_lo, s2
	s_load_b64 s[22:23], s[14:15], 0x0
	s_delay_alu instid0(VALU_DEP_1)
	v_mul_lo_u32 v4, v8, s20
	v_mul_lo_u32 v11, v7, s21
	v_mad_co_u64_u32 v[9:10], null, v7, s20, 0
	s_add_nc_u64 s[16:17], s[16:17], 1
	s_add_nc_u64 s[14:15], s[14:15], 8
	s_wait_alu 0xfffe
	v_cmp_ge_u64_e64 s2, s[16:17], s[6:7]
	s_add_nc_u64 s[18:19], s[18:19], 8
	s_delay_alu instid0(VALU_DEP_2) | instskip(NEXT) | instid1(VALU_DEP_3)
	v_add3_u32 v4, v10, v11, v4
	v_sub_co_u32 v5, vcc_lo, v5, v9
	s_wait_alu 0xfffd
	s_delay_alu instid0(VALU_DEP_2) | instskip(SKIP_3) | instid1(VALU_DEP_2)
	v_sub_co_ci_u32_e32 v4, vcc_lo, v6, v4, vcc_lo
	s_and_b32 vcc_lo, exec_lo, s2
	s_wait_kmcnt 0x0
	v_mul_lo_u32 v6, s23, v5
	v_mul_lo_u32 v4, s22, v4
	v_mad_co_u64_u32 v[1:2], null, s22, v5, v[1:2]
	s_delay_alu instid0(VALU_DEP_1)
	v_add3_u32 v2, v6, v2, v4
	s_wait_alu 0xfffe
	s_cbranch_vccnz .LBB0_9
; %bb.7:                                ;   in Loop: Header=BB0_2 Depth=1
	v_dual_mov_b32 v5, v7 :: v_dual_mov_b32 v6, v8
	s_branch .LBB0_2
.LBB0_8:
	v_dual_mov_b32 v8, v6 :: v_dual_mov_b32 v7, v5
.LBB0_9:
	s_lshl_b64 s[2:3], s[6:7], 3
	s_load_b64 s[0:1], s[0:1], 0x20
	s_add_nc_u64 s[2:3], s[12:13], s[2:3]
	v_mul_hi_u32 v3, 0x28f5c29, v0
	s_load_b64 s[2:3], s[2:3], 0x0
	s_delay_alu instid0(VALU_DEP_1) | instskip(NEXT) | instid1(VALU_DEP_1)
	v_mul_u32_u24_e32 v3, 0x64, v3
	v_sub_nc_u32_e32 v23, v0, v3
	s_delay_alu instid0(VALU_DEP_1)
	v_lshl_add_u32 v16, v23, 2, 0
	s_wait_kmcnt 0x0
	v_cmp_gt_u64_e32 vcc_lo, s[0:1], v[7:8]
	v_add_nc_u32_e32 v22, 0x64, v23
	v_mul_lo_u32 v4, s2, v8
	v_mul_lo_u32 v5, s3, v7
	v_mad_co_u64_u32 v[1:2], null, s2, v7, v[1:2]
	v_add_nc_u32_e32 v21, 0xc8, v23
	v_add_nc_u32_e32 v19, 0x12c, v23
	;; [unrolled: 1-line block ×5, first 2 shown]
	v_add3_u32 v2, v5, v2, v4
	s_delay_alu instid0(VALU_DEP_1)
	v_lshlrev_b64_e32 v[0:1], 2, v[1:2]
	s_and_saveexec_b32 s1, vcc_lo
	s_cbranch_execz .LBB0_11
; %bb.10:
	v_mad_co_u64_u32 v[2:3], null, s8, v23, 0
	v_mad_co_u64_u32 v[4:5], null, s8, v22, 0
	;; [unrolled: 1-line block ×5, first 2 shown]
	s_delay_alu instid0(VALU_DEP_4) | instskip(SKIP_4) | instid1(VALU_DEP_3)
	v_mad_co_u64_u32 v[8:9], null, s9, v23, v[3:4]
	v_mad_co_u64_u32 v[9:10], null, s8, v19, 0
	v_mov_b32_e32 v3, v7
	v_mad_co_u64_u32 v[11:12], null, s9, v22, v[5:6]
	v_add_co_u32 v29, s0, s10, v0
	v_mad_co_u64_u32 v[12:13], null, s9, v21, v[3:4]
	v_mad_co_u64_u32 v[13:14], null, s8, v20, 0
	v_dual_mov_b32 v3, v8 :: v_dual_mov_b32 v8, v10
	v_mov_b32_e32 v5, v11
	s_wait_alu 0xf1ff
	v_add_co_ci_u32_e64 v30, s0, s11, v1, s0
	v_mov_b32_e32 v7, v12
	v_mad_co_u64_u32 v[11:12], null, s9, v19, v[8:9]
	v_mov_b32_e32 v10, v14
	v_mov_b32_e32 v8, v25
	v_lshlrev_b64_e32 v[2:3], 2, v[2:3]
	v_lshlrev_b64_e32 v[4:5], 2, v[4:5]
	s_delay_alu instid0(VALU_DEP_4) | instskip(SKIP_4) | instid1(VALU_DEP_4)
	v_mad_co_u64_u32 v[14:15], null, s9, v20, v[10:11]
	v_mov_b32_e32 v10, v11
	v_mad_co_u64_u32 v[11:12], null, s9, v18, v[8:9]
	v_add_co_u32 v2, s0, v29, v2
	v_lshlrev_b64_e32 v[6:7], 2, v[6:7]
	v_lshlrev_b64_e32 v[9:10], 2, v[9:10]
	v_mov_b32_e32 v8, v27
	s_wait_alu 0xf1ff
	v_add_co_ci_u32_e64 v3, s0, v30, v3, s0
	v_mov_b32_e32 v25, v11
	v_add_co_u32 v4, s0, v29, v4
	s_wait_alu 0xf1ff
	v_add_co_ci_u32_e64 v5, s0, v30, v5, s0
	v_add_co_u32 v6, s0, v29, v6
	v_mad_co_u64_u32 v[27:28], null, s9, v17, v[8:9]
	s_wait_alu 0xf1ff
	v_add_co_ci_u32_e64 v7, s0, v30, v7, s0
	v_lshlrev_b64_e32 v[12:13], 2, v[13:14]
	v_add_co_u32 v8, s0, v29, v9
	s_wait_alu 0xf1ff
	v_add_co_ci_u32_e64 v9, s0, v30, v10, s0
	v_lshlrev_b64_e32 v[10:11], 2, v[24:25]
	s_delay_alu instid0(VALU_DEP_4) | instskip(SKIP_3) | instid1(VALU_DEP_4)
	v_add_co_u32 v12, s0, v29, v12
	v_lshlrev_b64_e32 v[14:15], 2, v[26:27]
	s_wait_alu 0xf1ff
	v_add_co_ci_u32_e64 v13, s0, v30, v13, s0
	v_add_co_u32 v10, s0, v29, v10
	s_wait_alu 0xf1ff
	v_add_co_ci_u32_e64 v11, s0, v30, v11, s0
	v_add_co_u32 v14, s0, v29, v14
	s_wait_alu 0xf1ff
	v_add_co_ci_u32_e64 v15, s0, v30, v15, s0
	s_clause 0x6
	global_load_b32 v2, v[2:3], off
	global_load_b32 v3, v[4:5], off
	;; [unrolled: 1-line block ×7, first 2 shown]
	v_add_nc_u32_e32 v9, 0x200, v16
	v_add_nc_u32_e32 v10, 0x400, v16
	s_wait_loadcnt 0x5
	ds_store_2addr_b32 v16, v2, v3 offset1:100
	s_wait_loadcnt 0x3
	ds_store_2addr_b32 v9, v4, v5 offset0:72 offset1:172
	s_wait_loadcnt 0x1
	ds_store_2addr_b32 v10, v6, v7 offset0:144 offset1:244
	s_wait_loadcnt 0x0
	ds_store_b32 v16, v8 offset:2400
.LBB0_11:
	s_wait_alu 0xfffe
	s_or_b32 exec_lo, exec_lo, s1
	v_add_nc_u32_e32 v2, 0x400, v16
	v_add_nc_u32_e32 v3, 0x800, v16
	global_wb scope:SCOPE_SE
	s_wait_dscnt 0x0
	s_barrier_signal -1
	s_barrier_wait -1
	global_inv scope:SCOPE_SE
	ds_load_2addr_b32 v[12:13], v16 offset1:70
	ds_load_2addr_b32 v[14:15], v16 offset0:140 offset1:210
	ds_load_2addr_b32 v[10:11], v2 offset0:24 offset1:94
	;; [unrolled: 1-line block ×4, first 2 shown]
	v_cmp_gt_u32_e64 s0, 0x46, v23
	global_wb scope:SCOPE_SE
	s_wait_dscnt 0x0
	s_barrier_signal -1
	s_barrier_wait -1
	global_inv scope:SCOPE_SE
	v_lshrrev_b32_e32 v27, 16, v12
	v_lshrrev_b32_e32 v3, 16, v14
	;; [unrolled: 1-line block ×4, first 2 shown]
	v_sub_f16_e32 v26, v6, v8
	v_sub_f16_e32 v28, v14, v10
	v_add_f16_e32 v29, v14, v6
	v_lshrrev_b32_e32 v5, 16, v6
	v_sub_f16_e32 v38, v24, v25
	v_add_f16_e32 v4, v10, v8
	v_add_f16_e32 v32, v28, v26
	v_fma_f16 v28, -0.5, v29, v12
	v_sub_f16_e32 v30, v8, v6
	v_sub_f16_e32 v31, v10, v14
	;; [unrolled: 1-line block ×3, first 2 shown]
	v_fma_f16 v33, -0.5, v4, v12
	v_fmamk_f16 v29, v38, 0x3b9c, v28
	v_fmac_f16_e32 v28, 0xbb9c, v38
	v_add_f16_e32 v4, v31, v30
	v_add_f16_e32 v26, v24, v25
	;; [unrolled: 1-line block ×3, first 2 shown]
	v_fmac_f16_e32 v29, 0xb8b4, v37
	v_fmac_f16_e32 v28, 0x38b4, v37
	v_sub_f16_e32 v35, v10, v8
	v_sub_f16_e32 v40, v3, v24
	;; [unrolled: 1-line block ×5, first 2 shown]
	v_fma_f16 v39, -0.5, v26, v27
	v_fmac_f16_e32 v27, -0.5, v31
	v_fmac_f16_e32 v29, 0x34f2, v4
	v_fmac_f16_e32 v28, 0x34f2, v4
	v_add_f16_e32 v4, v11, v9
	v_sub_f16_e32 v36, v14, v6
	v_fmamk_f16 v31, v35, 0xbb9c, v27
	v_add_f16_e32 v40, v40, v41
	v_add_f16_e32 v3, v3, v5
	v_fmac_f16_e32 v27, 0x3b9c, v35
	v_lshrrev_b32_e32 v5, 16, v15
	v_lshrrev_b32_e32 v24, 16, v7
	;; [unrolled: 1-line block ×4, first 2 shown]
	v_fma_f16 v41, -0.5, v4, v13
	v_sub_f16_e32 v4, v7, v9
	v_sub_f16_e32 v43, v15, v11
	v_fmac_f16_e32 v31, 0x38b4, v36
	v_fmac_f16_e32 v27, 0xb8b4, v36
	v_add_f16_e32 v45, v25, v26
	v_lshrrev_b32_e32 v50, 16, v13
	v_add_f16_e32 v46, v43, v4
	v_add_f16_e32 v4, v5, v24
	v_fmac_f16_e32 v31, 0x34f2, v3
	v_fmac_f16_e32 v27, 0x34f2, v3
	v_add_f16_e32 v3, v15, v7
	v_fma_f16 v49, -0.5, v45, v50
	v_sub_f16_e32 v51, v11, v9
	v_fmac_f16_e32 v50, -0.5, v4
	v_sub_f16_e32 v53, v15, v7
	v_sub_f16_e32 v42, v5, v24
	;; [unrolled: 1-line block ×3, first 2 shown]
	v_fma_f16 v3, -0.5, v3, v13
	v_fmamk_f16 v48, v51, 0xbb9c, v50
	v_sub_f16_e32 v45, v25, v5
	v_sub_f16_e32 v47, v26, v24
	;; [unrolled: 1-line block ×4, first 2 shown]
	v_fmac_f16_e32 v50, 0x3b9c, v51
	v_fmamk_f16 v26, v53, 0xbb9c, v49
	v_fmamk_f16 v55, v42, 0x3b9c, v41
	;; [unrolled: 1-line block ×3, first 2 shown]
	v_sub_f16_e32 v4, v9, v7
	v_sub_f16_e32 v43, v11, v15
	v_fmac_f16_e32 v48, 0x38b4, v53
	v_add_f16_e32 v25, v45, v47
	v_fmac_f16_e32 v3, 0xbb9c, v44
	v_add_f16_e32 v54, v5, v24
	v_fmac_f16_e32 v50, 0xb8b4, v53
	v_fmac_f16_e32 v26, 0xb8b4, v51
	v_fmamk_f16 v30, v37, 0x3b9c, v33
	v_fmamk_f16 v34, v36, 0xbb9c, v39
	v_fmac_f16_e32 v55, 0x38b4, v44
	v_fmac_f16_e32 v56, 0xb8b4, v42
	v_add_f16_e32 v4, v43, v4
	v_fmac_f16_e32 v48, 0x34f2, v25
	v_fmac_f16_e32 v3, 0x38b4, v42
	;; [unrolled: 1-line block ×7, first 2 shown]
	v_mul_f16_e32 v43, 0xbb9c, v48
	v_fmac_f16_e32 v55, 0x34f2, v46
	v_fmac_f16_e32 v3, 0x34f2, v4
	v_mul_f16_e32 v45, 0xbb9c, v50
	v_mul_f16_e32 v47, 0xb8b4, v26
	;; [unrolled: 1-line block ×5, first 2 shown]
	v_fmac_f16_e32 v30, 0x34f2, v32
	v_fmac_f16_e32 v34, 0x34f2, v40
	v_fmac_f16_e32 v43, 0x34f2, v56
	v_fmac_f16_e32 v45, 0xb4f2, v3
	v_fmac_f16_e32 v47, 0xba79, v55
	v_fmac_f16_e32 v48, 0x3b9c, v56
	v_fmac_f16_e32 v50, 0x3b9c, v3
	v_fmac_f16_e32 v52, 0x38b4, v55
	v_sub_f16_e32 v3, v29, v43
	v_sub_f16_e32 v4, v28, v45
	;; [unrolled: 1-line block ×6, first 2 shown]
	s_and_saveexec_b32 s1, s0
	s_cbranch_execz .LBB0_13
; %bb.12:
	v_mul_f16_e32 v42, 0x3b9c, v42
	v_mul_f16_e32 v53, 0x3b9c, v53
	;; [unrolled: 1-line block ×5, first 2 shown]
	v_sub_f16_e32 v41, v41, v42
	v_mul_f16_e32 v42, 0x34f2, v46
	v_mul_f16_e32 v46, 0x38b4, v51
	v_add_f16_e32 v49, v49, v53
	v_mul_f16_e32 v35, 0x38b4, v35
	v_sub_f16_e32 v41, v41, v44
	v_mul_f16_e32 v44, 0x34f2, v54
	v_add_f16_e32 v36, v39, v36
	v_add_f16_e32 v39, v46, v49
	v_mul_f16_e32 v38, 0x38b4, v38
	v_add_f16_e32 v41, v42, v41
	v_sub_f16_e32 v33, v33, v37
	v_add_f16_e32 v35, v35, v36
	v_add_f16_e32 v36, v44, v39
	v_pk_add_f16 v12, v12, v14
	v_pk_add_f16 v13, v13, v15
	v_mul_f16_e32 v40, 0x34f2, v40
	v_mul_f16_e32 v37, 0x38b4, v41
	;; [unrolled: 1-line block ×3, first 2 shown]
	v_sub_f16_e32 v33, v33, v38
	v_mul_f16_e32 v38, 0x38b4, v36
	v_pk_add_f16 v10, v12, v10
	v_pk_add_f16 v11, v13, v11
	v_add_f16_e32 v35, v40, v35
	v_fmac_f16_e32 v37, 0x3a79, v36
	v_add_f16_e32 v14, v32, v33
	v_fma_f16 v15, v41, 0x3a79, -v38
	v_pk_add_f16 v8, v10, v8
	v_pk_add_f16 v9, v11, v9
	v_add_f16_e32 v11, v35, v37
	v_add_f16_e32 v27, v27, v50
	v_sub_f16_e32 v12, v14, v15
	v_pk_add_f16 v6, v8, v6
	v_pk_add_f16 v7, v9, v7
	v_add_f16_e32 v8, v14, v15
	v_add_f16_e32 v10, v31, v48
	;; [unrolled: 1-line block ×6, first 2 shown]
	v_sub_f16_e32 v32, v35, v37
	v_mad_u32_u24 v15, v23, 36, v16
	v_pk_add_f16 v28, v6, v7
	v_pack_b32_f16 v8, v8, v11
	v_pack_b32_f16 v9, v9, v27
	;; [unrolled: 1-line block ×3, first 2 shown]
	v_pk_add_f16 v6, v6, v7 neg_lo:[0,1] neg_hi:[0,1]
	v_pack_b32_f16 v7, v30, v13
	v_pack_b32_f16 v11, v12, v32
	v_perm_b32 v12, v25, v3, 0x5040100
	v_perm_b32 v13, v24, v5, 0x5040100
	v_perm_b32 v14, v26, v4, 0x5040100
	ds_store_2addr_b32 v15, v28, v8 offset1:1
	ds_store_2addr_b32 v15, v10, v9 offset0:2 offset1:3
	ds_store_2addr_b32 v15, v7, v6 offset0:4 offset1:5
	;; [unrolled: 1-line block ×4, first 2 shown]
.LBB0_13:
	s_wait_alu 0xfffe
	s_or_b32 exec_lo, exec_lo, s1
	v_and_b32_e32 v6, 0xff, v23
	global_wb scope:SCOPE_SE
	s_wait_dscnt 0x0
	s_barrier_signal -1
	s_barrier_wait -1
	global_inv scope:SCOPE_SE
	v_mul_lo_u16 v6, 0xcd, v6
	s_delay_alu instid0(VALU_DEP_1) | instskip(NEXT) | instid1(VALU_DEP_1)
	v_lshrrev_b16 v29, 11, v6
	v_mul_lo_u16 v6, v29, 10
	s_delay_alu instid0(VALU_DEP_1) | instskip(NEXT) | instid1(VALU_DEP_1)
	v_sub_nc_u16 v6, v23, v6
	v_and_b32_e32 v30, 0xff, v6
	s_delay_alu instid0(VALU_DEP_1) | instskip(SKIP_1) | instid1(VALU_DEP_2)
	v_mul_u32_u24_e32 v6, 6, v30
	v_lshlrev_b32_e32 v30, 2, v30
	v_lshlrev_b32_e32 v10, 2, v6
	s_clause 0x1
	global_load_b128 v[6:9], v10, s[4:5]
	global_load_b64 v[10:11], v10, s[4:5] offset:16
	ds_load_2addr_b32 v[12:13], v16 offset1:100
	ds_load_2addr_b32 v[14:15], v2 offset0:144 offset1:244
	v_add_nc_u32_e32 v2, 0x200, v16
	ds_load_b32 v31, v16 offset:2400
	ds_load_2addr_b32 v[27:28], v2 offset0:72 offset1:172
	v_and_b32_e32 v2, 0xffff, v29
	global_wb scope:SCOPE_SE
	s_wait_loadcnt_dscnt 0x0
	s_barrier_signal -1
	s_barrier_wait -1
	global_inv scope:SCOPE_SE
	v_mul_u32_u24_e32 v2, 0x118, v2
	s_delay_alu instid0(VALU_DEP_1)
	v_add3_u32 v30, 0, v2, v30
	v_lshrrev_b32_e32 v29, 16, v13
	v_lshrrev_b32_e32 v33, 16, v15
	;; [unrolled: 1-line block ×13, first 2 shown]
	v_mul_f16_e32 v43, v2, v29
	v_mul_f16_e32 v2, v2, v13
	;; [unrolled: 1-line block ×12, first 2 shown]
	v_fmac_f16_e32 v43, v6, v13
	v_fma_f16 v2, v6, v29, -v2
	v_fmac_f16_e32 v44, v7, v27
	v_fma_f16 v6, v7, v36, -v38
	;; [unrolled: 2-line block ×6, first 2 shown]
	v_add_f16_e32 v11, v43, v48
	v_add_f16_e32 v13, v2, v8
	v_sub_f16_e32 v2, v2, v8
	v_add_f16_e32 v8, v44, v47
	v_add_f16_e32 v15, v6, v10
	v_sub_f16_e32 v27, v44, v47
	v_sub_f16_e32 v6, v6, v10
	v_add_f16_e32 v10, v45, v46
	v_add_f16_e32 v28, v7, v9
	v_sub_f16_e32 v29, v46, v45
	;; [unrolled: 4-line block ×3, first 2 shown]
	v_sub_f16_e32 v32, v8, v11
	v_sub_f16_e32 v33, v15, v13
	;; [unrolled: 1-line block ×6, first 2 shown]
	v_add_f16_e32 v34, v29, v27
	v_add_f16_e32 v36, v7, v6
	v_sub_f16_e32 v37, v29, v27
	v_sub_f16_e32 v38, v7, v6
	;; [unrolled: 1-line block ×3, first 2 shown]
	v_add_f16_e32 v9, v10, v9
	v_add_f16_e32 v10, v28, v31
	v_sub_f16_e32 v27, v27, v14
	v_sub_f16_e32 v29, v14, v29
	;; [unrolled: 1-line block ×3, first 2 shown]
	v_add_f16_e32 v14, v34, v14
	v_add_f16_e32 v2, v36, v2
	v_mul_f16_e32 v11, 0x3a52, v11
	v_mul_f16_e32 v13, 0x3a52, v13
	;; [unrolled: 1-line block ×7, first 2 shown]
	v_add_f16_e32 v6, v9, v12
	v_add_f16_e32 v12, v10, v35
	v_mul_f16_e32 v37, 0xbb00, v27
	v_fmamk_f16 v8, v8, 0x2b26, v11
	v_fmamk_f16 v15, v15, 0x2b26, v13
	v_fma_f16 v28, v32, 0x39e0, -v28
	v_fma_f16 v31, v33, 0x39e0, -v31
	;; [unrolled: 1-line block ×4, first 2 shown]
	v_fmamk_f16 v32, v29, 0xb574, v34
	v_fmamk_f16 v33, v7, 0xb574, v36
	v_fma_f16 v27, v27, 0xbb00, -v34
	v_fma_f16 v34, v39, 0xbb00, -v36
	;; [unrolled: 1-line block ×3, first 2 shown]
	v_fmamk_f16 v7, v9, 0xbcab, v6
	v_fmamk_f16 v9, v10, 0xbcab, v12
	v_fma_f16 v29, v29, 0x3574, -v37
	v_fmac_f16_e32 v32, 0xb70e, v14
	v_fmac_f16_e32 v33, 0xb70e, v2
	;; [unrolled: 1-line block ×4, first 2 shown]
	v_add_f16_e32 v2, v8, v7
	v_add_f16_e32 v37, v15, v9
	v_fmac_f16_e32 v27, 0xb70e, v14
	v_fmac_f16_e32 v29, 0xb70e, v14
	v_add_f16_e32 v10, v28, v7
	v_add_f16_e32 v11, v11, v7
	;; [unrolled: 1-line block ×5, first 2 shown]
	v_sub_f16_e32 v13, v37, v32
	v_add_f16_e32 v8, v35, v11
	v_sub_f16_e32 v15, v38, v29
	v_sub_f16_e32 v9, v10, v34
	v_add_f16_e32 v14, v27, v28
	v_add_f16_e32 v10, v34, v10
	v_sub_f16_e32 v28, v28, v27
	v_sub_f16_e32 v11, v11, v35
	v_add_f16_e32 v27, v29, v38
	v_sub_f16_e32 v2, v2, v33
	v_add_f16_e32 v29, v32, v37
	v_pack_b32_f16 v36, v6, v12
	v_pack_b32_f16 v31, v7, v13
	;; [unrolled: 1-line block ×7, first 2 shown]
	ds_store_2addr_b32 v30, v36, v31 offset1:10
	ds_store_2addr_b32 v30, v32, v33 offset0:20 offset1:30
	ds_store_2addr_b32 v30, v34, v35 offset0:40 offset1:50
	ds_store_b32 v30, v37 offset:240
	global_wb scope:SCOPE_SE
	s_wait_dscnt 0x0
	s_barrier_signal -1
	s_barrier_wait -1
	global_inv scope:SCOPE_SE
	s_and_saveexec_b32 s1, s0
	s_cbranch_execz .LBB0_15
; %bb.14:
	v_add_nc_u32_e32 v2, 0x800, v16
	v_add_nc_u32_e32 v3, 0x400, v16
	ds_load_2addr_b32 v[6:7], v16 offset1:70
	ds_load_2addr_b32 v[8:9], v16 offset0:140 offset1:210
	ds_load_2addr_b32 v[4:5], v2 offset0:48 offset1:118
	;; [unrolled: 1-line block ×4, first 2 shown]
	s_wait_dscnt 0x3
	v_lshrrev_b32_e32 v15, 16, v8
	v_lshrrev_b32_e32 v12, 16, v6
	v_lshrrev_b32_e32 v13, 16, v7
	v_lshrrev_b32_e32 v14, 16, v9
	s_wait_dscnt 0x2
	v_lshrrev_b32_e32 v26, 16, v4
	v_lshrrev_b32_e32 v24, 16, v5
	s_wait_dscnt 0x1
	v_lshrrev_b32_e32 v28, 16, v10
	v_lshrrev_b32_e32 v27, 16, v11
	;; [unrolled: 3-line block ×3, first 2 shown]
.LBB0_15:
	s_wait_alu 0xfffe
	s_or_b32 exec_lo, exec_lo, s1
	global_wb scope:SCOPE_SE
	s_barrier_signal -1
	s_barrier_wait -1
	global_inv scope:SCOPE_SE
	s_and_saveexec_b32 s1, s0
	s_cbranch_execz .LBB0_17
; %bb.16:
	v_dual_mov_b32 v31, 0 :: v_dual_add_nc_u32 v30, 0xffffffba, v23
	v_add_nc_u32_e32 v40, 0x800, v16
	s_delay_alu instid0(VALU_DEP_2) | instskip(NEXT) | instid1(VALU_DEP_1)
	v_cndmask_b32_e64 v30, v30, v23, s0
	v_mul_i32_i24_e32 v30, 9, v30
	s_delay_alu instid0(VALU_DEP_1) | instskip(NEXT) | instid1(VALU_DEP_1)
	v_lshlrev_b64_e32 v[30:31], 2, v[30:31]
	v_add_co_u32 v38, s0, s4, v30
	s_wait_alu 0xf1ff
	s_delay_alu instid0(VALU_DEP_2)
	v_add_co_ci_u32_e64 v39, s0, s5, v31, s0
	s_clause 0x2
	global_load_b128 v[30:33], v[38:39], off offset:240
	global_load_b128 v[34:37], v[38:39], off offset:256
	global_load_b32 v38, v[38:39], off offset:272
	v_add_nc_u32_e32 v39, 0x400, v16
	s_wait_loadcnt 0x2
	v_lshrrev_b32_e32 v42, 16, v31
	v_lshrrev_b32_e32 v43, 16, v32
	;; [unrolled: 1-line block ×3, first 2 shown]
	s_wait_loadcnt 0x1
	v_lshrrev_b32_e32 v45, 16, v34
	v_lshrrev_b32_e32 v46, 16, v35
	;; [unrolled: 1-line block ×4, first 2 shown]
	s_wait_loadcnt 0x0
	v_lshrrev_b32_e32 v49, 16, v38
	v_lshrrev_b32_e32 v41, 16, v30
	v_mul_f16_e32 v50, v8, v42
	v_mul_f16_e32 v51, v10, v44
	;; [unrolled: 1-line block ×18, first 2 shown]
	v_fma_f16 v15, v15, v31, -v50
	v_fma_f16 v28, v28, v33, -v51
	;; [unrolled: 1-line block ×4, first 2 shown]
	v_fmac_f16_e32 v47, v4, v37
	v_fmac_f16_e32 v46, v2, v35
	;; [unrolled: 1-line block ×6, first 2 shown]
	v_fma_f16 v2, v14, v32, -v43
	v_fma_f16 v3, v24, v38, -v49
	;; [unrolled: 1-line block ×4, first 2 shown]
	v_fmac_f16_e32 v42, v8, v31
	v_fmac_f16_e32 v44, v10, v33
	;; [unrolled: 1-line block ×3, first 2 shown]
	v_fma_f16 v7, v13, v30, -v41
	v_sub_f16_e32 v8, v15, v28
	v_sub_f16_e32 v9, v26, v29
	v_add_f16_e32 v10, v28, v29
	v_sub_f16_e32 v14, v54, v55
	v_sub_f16_e32 v24, v56, v57
	v_add_f16_e32 v25, v55, v57
	v_add_f16_e32 v33, v4, v5
	v_add_f16_e32 v50, v2, v3
	v_sub_f16_e32 v11, v42, v47
	v_sub_f16_e32 v27, v2, v3
	;; [unrolled: 1-line block ×10, first 2 shown]
	v_add_f16_e32 v45, v54, v56
	v_sub_f16_e32 v48, v4, v2
	v_add_f16_e32 v2, v7, v2
	v_sub_f16_e32 v52, v42, v44
	;; [unrolled: 2-line block ×3, first 2 shown]
	v_add_f16_e32 v63, v42, v47
	v_add_f16_e32 v42, v6, v42
	;; [unrolled: 1-line block ×4, first 2 shown]
	v_fma_f16 v9, -0.5, v10, v12
	v_add_f16_e32 v10, v14, v24
	v_fma_f16 v14, -0.5, v25, v58
	v_fma_f16 v25, -0.5, v33, v7
	;; [unrolled: 1-line block ×3, first 2 shown]
	v_add_f16_e32 v38, v15, v26
	v_add_f16_e32 v51, v12, v15
	v_sub_f16_e32 v30, v4, v5
	v_sub_f16_e32 v49, v5, v3
	;; [unrolled: 1-line block ×3, first 2 shown]
	v_add_f16_e32 v24, v31, v32
	v_add_f16_e32 v31, v36, v37
	;; [unrolled: 1-line block ×3, first 2 shown]
	v_fma_f16 v33, -0.5, v45, v58
	v_add_f16_e32 v2, v2, v4
	v_fma_f16 v37, -0.5, v59, v6
	v_add_f16_e32 v41, v42, v44
	v_add_f16_e32 v42, v54, v55
	v_fmamk_f16 v45, v34, 0xbb9c, v25
	v_fmamk_f16 v50, v35, 0x3b9c, v7
	v_fmac_f16_e32 v7, 0xbb9c, v35
	v_fmac_f16_e32 v25, 0x3b9c, v34
	v_sub_f16_e32 v13, v44, v46
	v_sub_f16_e32 v60, v28, v29
	v_fma_f16 v12, -0.5, v38, v12
	v_add_f16_e32 v28, v51, v28
	v_sub_f16_e32 v53, v47, v46
	v_add_f16_e32 v36, v48, v49
	v_fma_f16 v6, -0.5, v63, v6
	v_fmamk_f16 v43, v11, 0xbb9c, v9
	v_fmamk_f16 v44, v27, 0x3b9c, v14
	;; [unrolled: 1-line block ×3, first 2 shown]
	v_fmac_f16_e32 v33, 0x3b9c, v30
	v_fmac_f16_e32 v9, 0x3b9c, v11
	;; [unrolled: 1-line block ×3, first 2 shown]
	v_add_f16_e32 v2, v2, v5
	v_fmamk_f16 v5, v15, 0x3b9c, v37
	v_fmac_f16_e32 v37, 0xbb9c, v15
	v_add_f16_e32 v41, v41, v46
	v_add_f16_e32 v42, v42, v57
	v_fmac_f16_e32 v7, 0x38b4, v34
	v_fmac_f16_e32 v25, 0x38b4, v35
	v_fmamk_f16 v48, v13, 0x3b9c, v12
	v_fmac_f16_e32 v12, 0xbb9c, v13
	v_add_f16_e32 v28, v28, v29
	v_fmac_f16_e32 v50, 0xb8b4, v34
	v_fmac_f16_e32 v45, 0xb8b4, v35
	v_add_f16_e32 v4, v52, v53
	v_fmamk_f16 v29, v60, 0xbb9c, v6
	v_fmac_f16_e32 v6, 0x3b9c, v60
	v_fmac_f16_e32 v43, 0xb8b4, v13
	v_fmac_f16_e32 v33, 0xb8b4, v27
	v_fmac_f16_e32 v9, 0x38b4, v13
	v_fmac_f16_e32 v14, 0xb8b4, v30
	v_add_f16_e32 v2, v2, v3
	v_fmac_f16_e32 v5, 0x38b4, v60
	v_fmac_f16_e32 v37, 0xb8b4, v60
	v_add_f16_e32 v3, v41, v47
	v_add_f16_e32 v13, v42, v56
	v_fmac_f16_e32 v7, 0x34f2, v36
	v_fmac_f16_e32 v25, 0x34f2, v24
	v_sub_f16_e32 v62, v46, v47
	v_fmac_f16_e32 v48, 0xb8b4, v11
	v_fmac_f16_e32 v49, 0x38b4, v27
	;; [unrolled: 1-line block ×3, first 2 shown]
	v_add_f16_e32 v11, v28, v26
	v_fmac_f16_e32 v50, 0x34f2, v36
	v_fmac_f16_e32 v44, 0x38b4, v30
	;; [unrolled: 1-line block ×9, first 2 shown]
	v_sub_f16_e32 v4, v3, v13
	v_add_f16_e32 v3, v3, v13
	v_mul_f16_e32 v13, 0x34f2, v7
	v_mul_f16_e32 v15, 0x3a79, v25
	;; [unrolled: 1-line block ×3, first 2 shown]
	v_add_f16_e32 v38, v61, v62
	v_fmac_f16_e32 v43, 0x34f2, v8
	v_fmac_f16_e32 v49, 0x34f2, v32
	;; [unrolled: 1-line block ×3, first 2 shown]
	v_sub_f16_e32 v8, v11, v2
	v_add_f16_e32 v2, v11, v2
	v_mul_f16_e32 v11, 0xb4f2, v50
	v_mul_f16_e32 v26, 0xbb9c, v50
	;; [unrolled: 1-line block ×3, first 2 shown]
	v_fmac_f16_e32 v44, 0x34f2, v10
	v_mul_f16_e32 v10, 0xba79, v45
	v_mul_f16_e32 v24, 0xb8b4, v45
	v_fmac_f16_e32 v12, 0x34f2, v31
	v_fmac_f16_e32 v13, 0x3b9c, v33
	;; [unrolled: 1-line block ×12, first 2 shown]
	v_sub_f16_e32 v14, v12, v13
	v_sub_f16_e32 v27, v9, v15
	v_add_f16_e32 v12, v12, v13
	v_add_f16_e32 v9, v9, v15
	;; [unrolled: 1-line block ×3, first 2 shown]
	v_pack_b32_f16 v2, v3, v2
	v_pack_b32_f16 v3, v4, v8
	v_sub_f16_e32 v8, v48, v11
	v_sub_f16_e32 v31, v6, v7
	v_add_f16_e32 v11, v48, v11
	v_add_f16_e32 v6, v6, v7
	v_add_f16_e32 v7, v29, v26
	v_sub_f16_e32 v4, v43, v10
	v_sub_f16_e32 v28, v5, v24
	v_add_f16_e32 v10, v43, v10
	v_add_f16_e32 v5, v5, v24
	v_sub_f16_e32 v15, v37, v25
	v_sub_f16_e32 v30, v29, v26
	v_pack_b32_f16 v9, v13, v9
	v_pack_b32_f16 v6, v6, v12
	;; [unrolled: 1-line block ×8, first 2 shown]
	ds_store_2addr_b32 v16, v2, v9 offset1:70
	ds_store_2addr_b32 v16, v6, v7 offset0:140 offset1:210
	ds_store_2addr_b32 v39, v5, v3 offset0:24 offset1:94
	;; [unrolled: 1-line block ×4, first 2 shown]
.LBB0_17:
	s_wait_alu 0xfffe
	s_or_b32 exec_lo, exec_lo, s1
	global_wb scope:SCOPE_SE
	s_wait_dscnt 0x0
	s_barrier_signal -1
	s_barrier_wait -1
	global_inv scope:SCOPE_SE
	s_and_saveexec_b32 s0, vcc_lo
	s_cbranch_execz .LBB0_19
; %bb.18:
	ds_load_2addr_b32 v[6:7], v16 offset1:100
	v_mad_co_u64_u32 v[2:3], null, s8, v23, 0
	v_mad_co_u64_u32 v[4:5], null, s8, v22, 0
	s_delay_alu instid0(VALU_DEP_1) | instskip(SKIP_1) | instid1(VALU_DEP_2)
	v_mad_co_u64_u32 v[8:9], null, s9, v23, v[3:4]
	v_mad_co_u64_u32 v[9:10], null, s8, v21, 0
	v_mov_b32_e32 v3, v8
	s_wait_dscnt 0x0
	s_delay_alu instid0(VALU_DEP_4) | instskip(NEXT) | instid1(VALU_DEP_3)
	v_mad_co_u64_u32 v[11:12], null, s9, v22, v[5:6]
	v_mov_b32_e32 v8, v10
	v_add_co_u32 v22, vcc_lo, s10, v0
	v_lshlrev_b64_e32 v[2:3], 2, v[2:3]
	s_wait_alu 0xfffd
	v_add_co_ci_u32_e32 v23, vcc_lo, s11, v1, vcc_lo
	v_mad_co_u64_u32 v[13:14], null, s9, v21, v[8:9]
	v_mov_b32_e32 v5, v11
	v_mad_co_u64_u32 v[11:12], null, s8, v20, 0
	v_mad_co_u64_u32 v[0:1], null, s8, v19, 0
	v_add_co_u32 v2, vcc_lo, v22, v2
	v_mov_b32_e32 v10, v13
	v_lshlrev_b64_e32 v[4:5], 2, v[4:5]
	v_dual_mov_b32 v8, v12 :: v_dual_add_nc_u32 v21, 0x200, v16
	s_wait_alu 0xfffd
	v_add_co_ci_u32_e32 v3, vcc_lo, v23, v3, vcc_lo
	v_mad_co_u64_u32 v[12:13], null, s9, v19, v[1:2]
	s_delay_alu instid0(VALU_DEP_4)
	v_add_co_u32 v4, vcc_lo, v22, v4
	v_mad_co_u64_u32 v[13:14], null, s9, v20, v[8:9]
	v_mad_co_u64_u32 v[14:15], null, s8, v18, 0
	s_wait_alu 0xfffd
	v_add_co_ci_u32_e32 v5, vcc_lo, v23, v5, vcc_lo
	s_clause 0x1
	global_store_b32 v[2:3], v6, off
	global_store_b32 v[4:5], v7, off
	v_mad_co_u64_u32 v[7:8], null, s8, v17, 0
	v_mov_b32_e32 v6, v15
	v_lshlrev_b64_e32 v[4:5], 2, v[9:10]
	v_dual_mov_b32 v1, v12 :: v_dual_mov_b32 v12, v13
	v_add_nc_u32_e32 v13, 0x400, v16
	ds_load_2addr_b32 v[2:3], v21 offset0:72 offset1:172
	v_mad_co_u64_u32 v[9:10], null, s9, v18, v[6:7]
	v_mov_b32_e32 v6, v8
	ds_load_2addr_b32 v[18:19], v13 offset0:144 offset1:244
	v_lshlrev_b64_e32 v[10:11], 2, v[11:12]
	v_lshlrev_b64_e32 v[0:1], 2, v[0:1]
	ds_load_b32 v16, v16 offset:2400
	v_add_co_u32 v4, vcc_lo, v22, v4
	v_mov_b32_e32 v15, v9
	v_mad_co_u64_u32 v[12:13], null, s9, v17, v[6:7]
	s_wait_alu 0xfffd
	v_add_co_ci_u32_e32 v5, vcc_lo, v23, v5, vcc_lo
	v_add_co_u32 v0, vcc_lo, v22, v0
	v_lshlrev_b64_e32 v[13:14], 2, v[14:15]
	s_wait_alu 0xfffd
	v_add_co_ci_u32_e32 v1, vcc_lo, v23, v1, vcc_lo
	v_mov_b32_e32 v8, v12
	v_add_co_u32 v9, vcc_lo, v22, v10
	s_wait_alu 0xfffd
	v_add_co_ci_u32_e32 v10, vcc_lo, v23, v11, vcc_lo
	s_delay_alu instid0(VALU_DEP_3) | instskip(SKIP_3) | instid1(VALU_DEP_3)
	v_lshlrev_b64_e32 v[6:7], 2, v[7:8]
	v_add_co_u32 v11, vcc_lo, v22, v13
	s_wait_alu 0xfffd
	v_add_co_ci_u32_e32 v12, vcc_lo, v23, v14, vcc_lo
	v_add_co_u32 v6, vcc_lo, v22, v6
	s_wait_alu 0xfffd
	v_add_co_ci_u32_e32 v7, vcc_lo, v23, v7, vcc_lo
	s_wait_dscnt 0x2
	s_clause 0x1
	global_store_b32 v[4:5], v2, off
	global_store_b32 v[0:1], v3, off
	s_wait_dscnt 0x1
	s_clause 0x1
	global_store_b32 v[9:10], v18, off
	global_store_b32 v[11:12], v19, off
	s_wait_dscnt 0x0
	global_store_b32 v[6:7], v16, off
.LBB0_19:
	s_nop 0
	s_sendmsg sendmsg(MSG_DEALLOC_VGPRS)
	s_endpgm
	.section	.rodata,"a",@progbits
	.p2align	6, 0x0
	.amdhsa_kernel fft_rtc_back_len700_factors_10_7_10_wgs_100_tpt_100_half_ip_CI_sbrr_dirReg
		.amdhsa_group_segment_fixed_size 0
		.amdhsa_private_segment_fixed_size 0
		.amdhsa_kernarg_size 88
		.amdhsa_user_sgpr_count 2
		.amdhsa_user_sgpr_dispatch_ptr 0
		.amdhsa_user_sgpr_queue_ptr 0
		.amdhsa_user_sgpr_kernarg_segment_ptr 1
		.amdhsa_user_sgpr_dispatch_id 0
		.amdhsa_user_sgpr_private_segment_size 0
		.amdhsa_wavefront_size32 1
		.amdhsa_uses_dynamic_stack 0
		.amdhsa_enable_private_segment 0
		.amdhsa_system_sgpr_workgroup_id_x 1
		.amdhsa_system_sgpr_workgroup_id_y 0
		.amdhsa_system_sgpr_workgroup_id_z 0
		.amdhsa_system_sgpr_workgroup_info 0
		.amdhsa_system_vgpr_workitem_id 0
		.amdhsa_next_free_vgpr 64
		.amdhsa_next_free_sgpr 35
		.amdhsa_reserve_vcc 1
		.amdhsa_float_round_mode_32 0
		.amdhsa_float_round_mode_16_64 0
		.amdhsa_float_denorm_mode_32 3
		.amdhsa_float_denorm_mode_16_64 3
		.amdhsa_fp16_overflow 0
		.amdhsa_workgroup_processor_mode 1
		.amdhsa_memory_ordered 1
		.amdhsa_forward_progress 0
		.amdhsa_round_robin_scheduling 0
		.amdhsa_exception_fp_ieee_invalid_op 0
		.amdhsa_exception_fp_denorm_src 0
		.amdhsa_exception_fp_ieee_div_zero 0
		.amdhsa_exception_fp_ieee_overflow 0
		.amdhsa_exception_fp_ieee_underflow 0
		.amdhsa_exception_fp_ieee_inexact 0
		.amdhsa_exception_int_div_zero 0
	.end_amdhsa_kernel
	.text
.Lfunc_end0:
	.size	fft_rtc_back_len700_factors_10_7_10_wgs_100_tpt_100_half_ip_CI_sbrr_dirReg, .Lfunc_end0-fft_rtc_back_len700_factors_10_7_10_wgs_100_tpt_100_half_ip_CI_sbrr_dirReg
                                        ; -- End function
	.section	.AMDGPU.csdata,"",@progbits
; Kernel info:
; codeLenInByte = 6168
; NumSgprs: 37
; NumVgprs: 64
; ScratchSize: 0
; MemoryBound: 0
; FloatMode: 240
; IeeeMode: 1
; LDSByteSize: 0 bytes/workgroup (compile time only)
; SGPRBlocks: 4
; VGPRBlocks: 7
; NumSGPRsForWavesPerEU: 37
; NumVGPRsForWavesPerEU: 64
; Occupancy: 16
; WaveLimiterHint : 1
; COMPUTE_PGM_RSRC2:SCRATCH_EN: 0
; COMPUTE_PGM_RSRC2:USER_SGPR: 2
; COMPUTE_PGM_RSRC2:TRAP_HANDLER: 0
; COMPUTE_PGM_RSRC2:TGID_X_EN: 1
; COMPUTE_PGM_RSRC2:TGID_Y_EN: 0
; COMPUTE_PGM_RSRC2:TGID_Z_EN: 0
; COMPUTE_PGM_RSRC2:TIDIG_COMP_CNT: 0
	.text
	.p2alignl 7, 3214868480
	.fill 96, 4, 3214868480
	.type	__hip_cuid_da0145908503ad02,@object ; @__hip_cuid_da0145908503ad02
	.section	.bss,"aw",@nobits
	.globl	__hip_cuid_da0145908503ad02
__hip_cuid_da0145908503ad02:
	.byte	0                               ; 0x0
	.size	__hip_cuid_da0145908503ad02, 1

	.ident	"AMD clang version 19.0.0git (https://github.com/RadeonOpenCompute/llvm-project roc-6.4.0 25133 c7fe45cf4b819c5991fe208aaa96edf142730f1d)"
	.section	".note.GNU-stack","",@progbits
	.addrsig
	.addrsig_sym __hip_cuid_da0145908503ad02
	.amdgpu_metadata
---
amdhsa.kernels:
  - .args:
      - .actual_access:  read_only
        .address_space:  global
        .offset:         0
        .size:           8
        .value_kind:     global_buffer
      - .offset:         8
        .size:           8
        .value_kind:     by_value
      - .actual_access:  read_only
        .address_space:  global
        .offset:         16
        .size:           8
        .value_kind:     global_buffer
      - .actual_access:  read_only
        .address_space:  global
        .offset:         24
        .size:           8
        .value_kind:     global_buffer
      - .offset:         32
        .size:           8
        .value_kind:     by_value
      - .actual_access:  read_only
        .address_space:  global
        .offset:         40
        .size:           8
        .value_kind:     global_buffer
      - .actual_access:  read_only
        .address_space:  global
        .offset:         48
        .size:           8
        .value_kind:     global_buffer
      - .offset:         56
        .size:           4
        .value_kind:     by_value
      - .actual_access:  read_only
        .address_space:  global
        .offset:         64
        .size:           8
        .value_kind:     global_buffer
      - .actual_access:  read_only
        .address_space:  global
        .offset:         72
        .size:           8
        .value_kind:     global_buffer
      - .address_space:  global
        .offset:         80
        .size:           8
        .value_kind:     global_buffer
    .group_segment_fixed_size: 0
    .kernarg_segment_align: 8
    .kernarg_segment_size: 88
    .language:       OpenCL C
    .language_version:
      - 2
      - 0
    .max_flat_workgroup_size: 100
    .name:           fft_rtc_back_len700_factors_10_7_10_wgs_100_tpt_100_half_ip_CI_sbrr_dirReg
    .private_segment_fixed_size: 0
    .sgpr_count:     37
    .sgpr_spill_count: 0
    .symbol:         fft_rtc_back_len700_factors_10_7_10_wgs_100_tpt_100_half_ip_CI_sbrr_dirReg.kd
    .uniform_work_group_size: 1
    .uses_dynamic_stack: false
    .vgpr_count:     64
    .vgpr_spill_count: 0
    .wavefront_size: 32
    .workgroup_processor_mode: 1
amdhsa.target:   amdgcn-amd-amdhsa--gfx1201
amdhsa.version:
  - 1
  - 2
...

	.end_amdgpu_metadata
